;; amdgpu-corpus repo=ROCm/rocFFT kind=compiled arch=gfx1201 opt=O3
	.text
	.amdgcn_target "amdgcn-amd-amdhsa--gfx1201"
	.amdhsa_code_object_version 6
	.protected	fft_rtc_fwd_len585_factors_13_5_9_wgs_195_tpt_65_dp_op_CI_CI_sbrr_dirReg ; -- Begin function fft_rtc_fwd_len585_factors_13_5_9_wgs_195_tpt_65_dp_op_CI_CI_sbrr_dirReg
	.globl	fft_rtc_fwd_len585_factors_13_5_9_wgs_195_tpt_65_dp_op_CI_CI_sbrr_dirReg
	.p2align	8
	.type	fft_rtc_fwd_len585_factors_13_5_9_wgs_195_tpt_65_dp_op_CI_CI_sbrr_dirReg,@function
fft_rtc_fwd_len585_factors_13_5_9_wgs_195_tpt_65_dp_op_CI_CI_sbrr_dirReg: ; @fft_rtc_fwd_len585_factors_13_5_9_wgs_195_tpt_65_dp_op_CI_CI_sbrr_dirReg
; %bb.0:
	s_clause 0x1
	s_load_b128 s[12:15], s[0:1], 0x18
	s_load_b128 s[8:11], s[0:1], 0x0
	v_mul_u32_u24_e32 v1, 0x3f1, v0
	v_mov_b32_e32 v28, 0
	s_load_b128 s[4:7], s[0:1], 0x58
	s_wait_kmcnt 0x0
	s_load_b64 s[18:19], s[12:13], 0x0
	s_load_b64 s[16:17], s[14:15], 0x0
	v_lshrrev_b32_e32 v2, 16, v1
	v_mov_b32_e32 v1, 0
	v_cmp_lt_u64_e64 s2, s[10:11], 2
	s_delay_alu instid0(VALU_DEP_3) | instskip(NEXT) | instid1(VALU_DEP_3)
	v_mad_co_u64_u32 v[76:77], null, ttmp9, 3, v[2:3]
	v_mov_b32_e32 v77, v1
	v_mov_b32_e32 v29, 0
	s_delay_alu instid0(VALU_DEP_4) | instskip(NEXT) | instid1(VALU_DEP_1)
	s_and_b32 vcc_lo, exec_lo, s2
	v_dual_mov_b32 v74, v76 :: v_dual_mov_b32 v73, v29
	s_delay_alu instid0(VALU_DEP_3)
	v_dual_mov_b32 v72, v28 :: v_dual_mov_b32 v75, v77
	s_cbranch_vccnz .LBB0_8
; %bb.1:
	s_load_b64 s[2:3], s[0:1], 0x10
	v_dual_mov_b32 v28, 0 :: v_dual_mov_b32 v3, v76
	v_dual_mov_b32 v29, 0 :: v_dual_mov_b32 v4, v77
	s_add_nc_u64 s[20:21], s[14:15], 8
	s_add_nc_u64 s[22:23], s[12:13], 8
	s_mov_b64 s[24:25], 1
	s_delay_alu instid0(VALU_DEP_1)
	v_dual_mov_b32 v73, v29 :: v_dual_mov_b32 v72, v28
	s_wait_kmcnt 0x0
	s_add_nc_u64 s[26:27], s[2:3], 8
	s_mov_b32 s3, 0
.LBB0_2:                                ; =>This Inner Loop Header: Depth=1
	s_load_b64 s[28:29], s[26:27], 0x0
                                        ; implicit-def: $vgpr74_vgpr75
	s_mov_b32 s2, exec_lo
	s_wait_kmcnt 0x0
	v_or_b32_e32 v2, s29, v4
	s_delay_alu instid0(VALU_DEP_1)
	v_cmpx_ne_u64_e32 0, v[1:2]
	s_wait_alu 0xfffe
	s_xor_b32 s30, exec_lo, s2
	s_cbranch_execz .LBB0_4
; %bb.3:                                ;   in Loop: Header=BB0_2 Depth=1
	s_cvt_f32_u32 s2, s28
	s_cvt_f32_u32 s31, s29
	s_sub_nc_u64 s[36:37], 0, s[28:29]
	s_wait_alu 0xfffe
	s_delay_alu instid0(SALU_CYCLE_1) | instskip(SKIP_1) | instid1(SALU_CYCLE_2)
	s_fmamk_f32 s2, s31, 0x4f800000, s2
	s_wait_alu 0xfffe
	v_s_rcp_f32 s2, s2
	s_delay_alu instid0(TRANS32_DEP_1) | instskip(SKIP_1) | instid1(SALU_CYCLE_2)
	s_mul_f32 s2, s2, 0x5f7ffffc
	s_wait_alu 0xfffe
	s_mul_f32 s31, s2, 0x2f800000
	s_wait_alu 0xfffe
	s_delay_alu instid0(SALU_CYCLE_2) | instskip(SKIP_1) | instid1(SALU_CYCLE_2)
	s_trunc_f32 s31, s31
	s_wait_alu 0xfffe
	s_fmamk_f32 s2, s31, 0xcf800000, s2
	s_cvt_u32_f32 s35, s31
	s_wait_alu 0xfffe
	s_delay_alu instid0(SALU_CYCLE_1) | instskip(SKIP_1) | instid1(SALU_CYCLE_2)
	s_cvt_u32_f32 s34, s2
	s_wait_alu 0xfffe
	s_mul_u64 s[38:39], s[36:37], s[34:35]
	s_wait_alu 0xfffe
	s_mul_hi_u32 s41, s34, s39
	s_mul_i32 s40, s34, s39
	s_mul_hi_u32 s2, s34, s38
	s_mul_i32 s33, s35, s38
	s_wait_alu 0xfffe
	s_add_nc_u64 s[40:41], s[2:3], s[40:41]
	s_mul_hi_u32 s31, s35, s38
	s_mul_hi_u32 s42, s35, s39
	s_add_co_u32 s2, s40, s33
	s_wait_alu 0xfffe
	s_add_co_ci_u32 s2, s41, s31
	s_mul_i32 s38, s35, s39
	s_add_co_ci_u32 s39, s42, 0
	s_wait_alu 0xfffe
	s_add_nc_u64 s[38:39], s[2:3], s[38:39]
	s_wait_alu 0xfffe
	v_add_co_u32 v2, s2, s34, s38
	s_delay_alu instid0(VALU_DEP_1) | instskip(SKIP_1) | instid1(VALU_DEP_1)
	s_cmp_lg_u32 s2, 0
	s_add_co_ci_u32 s35, s35, s39
	v_readfirstlane_b32 s34, v2
	s_wait_alu 0xfffe
	s_delay_alu instid0(VALU_DEP_1)
	s_mul_u64 s[36:37], s[36:37], s[34:35]
	s_wait_alu 0xfffe
	s_mul_hi_u32 s39, s34, s37
	s_mul_i32 s38, s34, s37
	s_mul_hi_u32 s2, s34, s36
	s_mul_i32 s33, s35, s36
	s_wait_alu 0xfffe
	s_add_nc_u64 s[38:39], s[2:3], s[38:39]
	s_mul_hi_u32 s31, s35, s36
	s_mul_hi_u32 s34, s35, s37
	s_wait_alu 0xfffe
	s_add_co_u32 s2, s38, s33
	s_add_co_ci_u32 s2, s39, s31
	s_mul_i32 s36, s35, s37
	s_add_co_ci_u32 s37, s34, 0
	s_wait_alu 0xfffe
	s_add_nc_u64 s[36:37], s[2:3], s[36:37]
	s_wait_alu 0xfffe
	v_add_co_u32 v2, s2, v2, s36
	s_delay_alu instid0(VALU_DEP_1) | instskip(SKIP_1) | instid1(VALU_DEP_1)
	s_cmp_lg_u32 s2, 0
	s_add_co_ci_u32 s2, s35, s37
	v_mul_hi_u32 v11, v3, v2
	s_wait_alu 0xfffe
	v_mad_co_u64_u32 v[5:6], null, v3, s2, 0
	v_mad_co_u64_u32 v[7:8], null, v4, v2, 0
	;; [unrolled: 1-line block ×3, first 2 shown]
	s_delay_alu instid0(VALU_DEP_3) | instskip(SKIP_1) | instid1(VALU_DEP_4)
	v_add_co_u32 v2, vcc_lo, v11, v5
	s_wait_alu 0xfffd
	v_add_co_ci_u32_e32 v5, vcc_lo, 0, v6, vcc_lo
	s_delay_alu instid0(VALU_DEP_2) | instskip(SKIP_1) | instid1(VALU_DEP_2)
	v_add_co_u32 v2, vcc_lo, v2, v7
	s_wait_alu 0xfffd
	v_add_co_ci_u32_e32 v2, vcc_lo, v5, v8, vcc_lo
	s_wait_alu 0xfffd
	v_add_co_ci_u32_e32 v5, vcc_lo, 0, v10, vcc_lo
	s_delay_alu instid0(VALU_DEP_2) | instskip(SKIP_1) | instid1(VALU_DEP_2)
	v_add_co_u32 v2, vcc_lo, v2, v9
	s_wait_alu 0xfffd
	v_add_co_ci_u32_e32 v7, vcc_lo, 0, v5, vcc_lo
	s_delay_alu instid0(VALU_DEP_2) | instskip(SKIP_1) | instid1(VALU_DEP_3)
	v_mul_lo_u32 v8, s29, v2
	v_mad_co_u64_u32 v[5:6], null, s28, v2, 0
	v_mul_lo_u32 v9, s28, v7
	s_delay_alu instid0(VALU_DEP_2) | instskip(NEXT) | instid1(VALU_DEP_2)
	v_sub_co_u32 v5, vcc_lo, v3, v5
	v_add3_u32 v6, v6, v9, v8
	s_delay_alu instid0(VALU_DEP_1) | instskip(SKIP_1) | instid1(VALU_DEP_1)
	v_sub_nc_u32_e32 v8, v4, v6
	s_wait_alu 0xfffd
	v_subrev_co_ci_u32_e64 v8, s2, s29, v8, vcc_lo
	v_add_co_u32 v9, s2, v2, 2
	s_wait_alu 0xf1ff
	v_add_co_ci_u32_e64 v10, s2, 0, v7, s2
	v_sub_co_u32 v11, s2, v5, s28
	v_sub_co_ci_u32_e32 v6, vcc_lo, v4, v6, vcc_lo
	s_wait_alu 0xf1ff
	v_subrev_co_ci_u32_e64 v8, s2, 0, v8, s2
	s_delay_alu instid0(VALU_DEP_3) | instskip(NEXT) | instid1(VALU_DEP_3)
	v_cmp_le_u32_e32 vcc_lo, s28, v11
	v_cmp_eq_u32_e64 s2, s29, v6
	s_wait_alu 0xfffd
	v_cndmask_b32_e64 v11, 0, -1, vcc_lo
	v_cmp_le_u32_e32 vcc_lo, s29, v8
	s_wait_alu 0xfffd
	v_cndmask_b32_e64 v12, 0, -1, vcc_lo
	v_cmp_le_u32_e32 vcc_lo, s28, v5
	;; [unrolled: 3-line block ×3, first 2 shown]
	s_wait_alu 0xfffd
	v_cndmask_b32_e64 v13, 0, -1, vcc_lo
	v_cmp_eq_u32_e32 vcc_lo, s29, v8
	s_wait_alu 0xf1ff
	s_delay_alu instid0(VALU_DEP_2)
	v_cndmask_b32_e64 v5, v13, v5, s2
	s_wait_alu 0xfffd
	v_cndmask_b32_e32 v8, v12, v11, vcc_lo
	v_add_co_u32 v11, vcc_lo, v2, 1
	s_wait_alu 0xfffd
	v_add_co_ci_u32_e32 v12, vcc_lo, 0, v7, vcc_lo
	s_delay_alu instid0(VALU_DEP_3) | instskip(SKIP_1) | instid1(VALU_DEP_2)
	v_cmp_ne_u32_e32 vcc_lo, 0, v8
	s_wait_alu 0xfffd
	v_cndmask_b32_e32 v6, v12, v10, vcc_lo
	v_cndmask_b32_e32 v8, v11, v9, vcc_lo
	v_cmp_ne_u32_e32 vcc_lo, 0, v5
	s_wait_alu 0xfffd
	s_delay_alu instid0(VALU_DEP_2)
	v_dual_cndmask_b32 v75, v7, v6 :: v_dual_cndmask_b32 v74, v2, v8
.LBB0_4:                                ;   in Loop: Header=BB0_2 Depth=1
	s_wait_alu 0xfffe
	s_and_not1_saveexec_b32 s2, s30
	s_cbranch_execz .LBB0_6
; %bb.5:                                ;   in Loop: Header=BB0_2 Depth=1
	v_cvt_f32_u32_e32 v2, s28
	s_sub_co_i32 s30, 0, s28
	v_mov_b32_e32 v75, v1
	s_delay_alu instid0(VALU_DEP_2) | instskip(NEXT) | instid1(TRANS32_DEP_1)
	v_rcp_iflag_f32_e32 v2, v2
	v_mul_f32_e32 v2, 0x4f7ffffe, v2
	s_delay_alu instid0(VALU_DEP_1) | instskip(SKIP_1) | instid1(VALU_DEP_1)
	v_cvt_u32_f32_e32 v2, v2
	s_wait_alu 0xfffe
	v_mul_lo_u32 v5, s30, v2
	s_delay_alu instid0(VALU_DEP_1) | instskip(NEXT) | instid1(VALU_DEP_1)
	v_mul_hi_u32 v5, v2, v5
	v_add_nc_u32_e32 v2, v2, v5
	s_delay_alu instid0(VALU_DEP_1) | instskip(NEXT) | instid1(VALU_DEP_1)
	v_mul_hi_u32 v2, v3, v2
	v_mul_lo_u32 v5, v2, s28
	v_add_nc_u32_e32 v6, 1, v2
	s_delay_alu instid0(VALU_DEP_2) | instskip(NEXT) | instid1(VALU_DEP_1)
	v_sub_nc_u32_e32 v5, v3, v5
	v_subrev_nc_u32_e32 v7, s28, v5
	v_cmp_le_u32_e32 vcc_lo, s28, v5
	s_wait_alu 0xfffd
	s_delay_alu instid0(VALU_DEP_2) | instskip(NEXT) | instid1(VALU_DEP_1)
	v_dual_cndmask_b32 v5, v5, v7 :: v_dual_cndmask_b32 v2, v2, v6
	v_cmp_le_u32_e32 vcc_lo, s28, v5
	s_delay_alu instid0(VALU_DEP_2) | instskip(SKIP_1) | instid1(VALU_DEP_1)
	v_add_nc_u32_e32 v6, 1, v2
	s_wait_alu 0xfffd
	v_cndmask_b32_e32 v74, v2, v6, vcc_lo
.LBB0_6:                                ;   in Loop: Header=BB0_2 Depth=1
	s_wait_alu 0xfffe
	s_or_b32 exec_lo, exec_lo, s2
	v_mul_lo_u32 v2, v75, s28
	s_delay_alu instid0(VALU_DEP_2)
	v_mul_lo_u32 v7, v74, s29
	s_load_b64 s[30:31], s[22:23], 0x0
	v_mad_co_u64_u32 v[5:6], null, v74, s28, 0
	s_load_b64 s[28:29], s[20:21], 0x0
	s_add_nc_u64 s[24:25], s[24:25], 1
	s_add_nc_u64 s[20:21], s[20:21], 8
	s_wait_alu 0xfffe
	v_cmp_ge_u64_e64 s2, s[24:25], s[10:11]
	s_add_nc_u64 s[22:23], s[22:23], 8
	s_add_nc_u64 s[26:27], s[26:27], 8
	v_add3_u32 v2, v6, v7, v2
	v_sub_co_u32 v3, vcc_lo, v3, v5
	s_wait_alu 0xfffd
	s_delay_alu instid0(VALU_DEP_2) | instskip(SKIP_2) | instid1(VALU_DEP_1)
	v_sub_co_ci_u32_e32 v2, vcc_lo, v4, v2, vcc_lo
	s_and_b32 vcc_lo, exec_lo, s2
	s_wait_kmcnt 0x0
	v_mul_lo_u32 v4, s30, v2
	v_mul_lo_u32 v5, s31, v3
	v_mad_co_u64_u32 v[28:29], null, s30, v3, v[28:29]
	v_mul_lo_u32 v2, s28, v2
	v_mul_lo_u32 v6, s29, v3
	v_mad_co_u64_u32 v[72:73], null, s28, v3, v[72:73]
	s_delay_alu instid0(VALU_DEP_4) | instskip(NEXT) | instid1(VALU_DEP_2)
	v_add3_u32 v29, v5, v29, v4
	v_add3_u32 v73, v6, v73, v2
	s_wait_alu 0xfffe
	s_cbranch_vccnz .LBB0_8
; %bb.7:                                ;   in Loop: Header=BB0_2 Depth=1
	v_dual_mov_b32 v3, v74 :: v_dual_mov_b32 v4, v75
	s_branch .LBB0_2
.LBB0_8:
	s_load_b64 s[0:1], s[0:1], 0x28
	s_lshl_b64 s[10:11], s[10:11], 3
	v_mul_hi_u32 v1, 0x3f03f04, v0
	s_wait_alu 0xfffe
	s_add_nc_u64 s[2:3], s[14:15], s[10:11]
	v_mov_b32_e32 v149, 0
	s_load_b64 s[2:3], s[2:3], 0x0
                                        ; implicit-def: $vgpr2_vgpr3
                                        ; implicit-def: $vgpr10_vgpr11
                                        ; implicit-def: $vgpr14_vgpr15
                                        ; implicit-def: $vgpr18_vgpr19
                                        ; implicit-def: $vgpr26_vgpr27
                                        ; implicit-def: $vgpr46_vgpr47
                                        ; implicit-def: $vgpr58_vgpr59
                                        ; implicit-def: $vgpr42_vgpr43
                                        ; implicit-def: $vgpr50_vgpr51
                                        ; implicit-def: $vgpr34_vgpr35
                                        ; implicit-def: $vgpr38_vgpr39
                                        ; implicit-def: $vgpr22_vgpr23
                                        ; implicit-def: $vgpr6_vgpr7
	s_delay_alu instid0(VALU_DEP_2) | instskip(NEXT) | instid1(VALU_DEP_1)
	v_mul_u32_u24_e32 v1, 0x41, v1
	v_sub_nc_u32_e32 v150, v0, v1
	s_wait_kmcnt 0x0
	v_cmp_gt_u64_e32 vcc_lo, s[0:1], v[74:75]
	s_and_saveexec_b32 s1, vcc_lo
	s_cbranch_execz .LBB0_12
; %bb.9:
	s_mov_b32 s14, exec_lo
                                        ; implicit-def: $vgpr4_vgpr5
                                        ; implicit-def: $vgpr20_vgpr21
                                        ; implicit-def: $vgpr36_vgpr37
                                        ; implicit-def: $vgpr32_vgpr33
                                        ; implicit-def: $vgpr48_vgpr49
                                        ; implicit-def: $vgpr40_vgpr41
                                        ; implicit-def: $vgpr56_vgpr57
                                        ; implicit-def: $vgpr44_vgpr45
                                        ; implicit-def: $vgpr24_vgpr25
                                        ; implicit-def: $vgpr16_vgpr17
                                        ; implicit-def: $vgpr12_vgpr13
                                        ; implicit-def: $vgpr8_vgpr9
                                        ; implicit-def: $vgpr0_vgpr1
	v_cmpx_gt_u32_e32 45, v150
	s_cbranch_execz .LBB0_11
; %bb.10:
	s_add_nc_u64 s[10:11], s[12:13], s[10:11]
	v_add_nc_u32_e32 v17, 0x87, v150
	s_load_b64 s[10:11], s[10:11], 0x0
	v_mad_co_u64_u32 v[0:1], null, s18, v150, 0
	v_lshlrev_b64_e32 v[12:13], 4, v[28:29]
	s_delay_alu instid0(VALU_DEP_3)
	v_mad_co_u64_u32 v[10:11], null, s18, v17, 0
	v_add_nc_u32_e32 v16, 0x5a, v150
	v_add_nc_u32_e32 v19, 0xb4, v150
	;; [unrolled: 1-line block ×5, first 2 shown]
	v_mad_co_u64_u32 v[8:9], null, s18, v16, 0
	v_add_nc_u32_e32 v14, 45, v150
	s_delay_alu instid0(VALU_DEP_1) | instskip(SKIP_4) | instid1(VALU_DEP_4)
	v_mad_co_u64_u32 v[2:3], null, s18, v14, 0
	s_wait_kmcnt 0x0
	v_mul_lo_u32 v15, s11, v74
	v_mul_lo_u32 v18, s10, v75
	v_mad_co_u64_u32 v[4:5], null, s10, v74, 0
	v_mad_co_u64_u32 v[6:7], null, s19, v150, v[1:2]
	v_mov_b32_e32 v7, v9
	v_mov_b32_e32 v9, v11
	s_delay_alu instid0(VALU_DEP_4) | instskip(NEXT) | instid1(VALU_DEP_4)
	v_add3_u32 v5, v5, v18, v15
	v_dual_mov_b32 v1, v6 :: v_dual_add_nc_u32 v18, 0x10e, v150
	s_delay_alu instid0(VALU_DEP_2) | instskip(SKIP_2) | instid1(VALU_DEP_4)
	v_lshlrev_b64_e32 v[4:5], 4, v[4:5]
	v_mad_co_u64_u32 v[6:7], null, s19, v16, v[7:8]
	v_add_nc_u32_e32 v16, 0xe1, v150
	v_lshlrev_b64_e32 v[0:1], 4, v[0:1]
	s_delay_alu instid0(VALU_DEP_4) | instskip(SKIP_3) | instid1(VALU_DEP_2)
	v_mad_co_u64_u32 v[14:15], null, s19, v14, v[3:4]
	v_add_co_u32 v4, s0, s4, v4
	s_wait_alu 0xf1ff
	v_add_co_ci_u32_e64 v5, s0, s5, v5, s0
	v_add_co_u32 v26, s0, v4, v12
	s_delay_alu instid0(VALU_DEP_4) | instskip(SKIP_1) | instid1(VALU_DEP_3)
	v_mov_b32_e32 v3, v14
	s_wait_alu 0xf1ff
	v_add_co_ci_u32_e64 v27, s0, v5, v13, s0
	s_delay_alu instid0(VALU_DEP_3) | instskip(NEXT) | instid1(VALU_DEP_3)
	v_add_co_u32 v0, s0, v26, v0
	v_lshlrev_b64_e32 v[2:3], 4, v[2:3]
	s_wait_alu 0xf1ff
	s_delay_alu instid0(VALU_DEP_3) | instskip(SKIP_2) | instid1(VALU_DEP_4)
	v_add_co_ci_u32_e64 v1, s0, v27, v1, s0
	v_mad_co_u64_u32 v[11:12], null, s19, v17, v[9:10]
	v_mov_b32_e32 v9, v6
	v_add_co_u32 v2, s0, v26, v2
	s_wait_alu 0xf1ff
	v_add_co_ci_u32_e64 v3, s0, v27, v3, s0
	s_clause 0x1
	global_load_b128 v[4:7], v[0:1], off
	global_load_b128 v[20:23], v[2:3], off
	v_mad_co_u64_u32 v[12:13], null, s18, v19, 0
	v_lshlrev_b64_e32 v[0:1], 4, v[8:9]
	v_mad_co_u64_u32 v[8:9], null, s18, v16, 0
	v_mad_co_u64_u32 v[14:15], null, s18, v18, 0
	v_lshlrev_b64_e32 v[10:11], 4, v[10:11]
	v_mov_b32_e32 v2, v13
	v_add_co_u32 v0, s0, v26, v0
	s_wait_alu 0xf1ff
	v_add_co_ci_u32_e64 v1, s0, v27, v1, s0
	s_delay_alu instid0(VALU_DEP_3)
	v_mad_co_u64_u32 v[2:3], null, s19, v19, v[2:3]
	v_mov_b32_e32 v3, v9
	v_add_co_u32 v9, s0, v26, v10
	s_wait_alu 0xf1ff
	v_add_co_ci_u32_e64 v10, s0, v27, v11, s0
	s_clause 0x1
	global_load_b128 v[36:39], v[0:1], off
	global_load_b128 v[32:35], v[9:10], off
	v_mov_b32_e32 v13, v2
	s_delay_alu instid0(VALU_DEP_1) | instskip(NEXT) | instid1(VALU_DEP_1)
	v_lshlrev_b64_e32 v[0:1], 4, v[12:13]
	v_add_co_u32 v0, s0, v26, v0
	s_wait_alu 0xf1ff
	s_delay_alu instid0(VALU_DEP_2) | instskip(SKIP_3) | instid1(VALU_DEP_1)
	v_add_co_ci_u32_e64 v1, s0, v27, v1, s0
	s_wait_loadcnt 0x3
	v_mad_co_u64_u32 v[2:3], null, s19, v16, v[3:4]
	v_mov_b32_e32 v3, v15
	v_mad_co_u64_u32 v[10:11], null, s19, v18, v[3:4]
	s_delay_alu instid0(VALU_DEP_3) | instskip(NEXT) | instid1(VALU_DEP_1)
	v_dual_mov_b32 v9, v2 :: v_dual_add_nc_u32 v18, 0x195, v150
	v_lshlrev_b64_e32 v[8:9], 4, v[8:9]
	s_delay_alu instid0(VALU_DEP_3) | instskip(NEXT) | instid1(VALU_DEP_2)
	v_mov_b32_e32 v15, v10
	v_add_co_u32 v8, s0, v26, v8
	s_delay_alu instid0(VALU_DEP_2) | instskip(SKIP_1) | instid1(VALU_DEP_4)
	v_lshlrev_b64_e32 v[10:11], 4, v[14:15]
	s_wait_alu 0xf1ff
	v_add_co_ci_u32_e64 v9, s0, v27, v9, s0
	s_clause 0x1
	global_load_b128 v[48:51], v[0:1], off
	global_load_b128 v[40:43], v[8:9], off
	v_add_co_u32 v0, s0, v26, v10
	s_wait_alu 0xf1ff
	v_add_co_ci_u32_e64 v1, s0, v27, v11, s0
	v_mad_co_u64_u32 v[10:11], null, s18, v18, 0
	v_add_nc_u32_e32 v19, 0x13b, v150
	v_mad_co_u64_u32 v[14:15], null, s18, v24, 0
	s_delay_alu instid0(VALU_DEP_2) | instskip(NEXT) | instid1(VALU_DEP_1)
	v_mad_co_u64_u32 v[16:17], null, s18, v19, 0
	v_mov_b32_e32 v2, v17
	s_delay_alu instid0(VALU_DEP_1) | instskip(SKIP_1) | instid1(VALU_DEP_1)
	v_mad_co_u64_u32 v[2:3], null, s19, v19, v[2:3]
	v_add_nc_u32_e32 v3, 0x168, v150
	v_mad_co_u64_u32 v[12:13], null, s18, v3, 0
	s_delay_alu instid0(VALU_DEP_3) | instskip(NEXT) | instid1(VALU_DEP_1)
	v_mov_b32_e32 v17, v2
	v_lshlrev_b64_e32 v[8:9], 4, v[16:17]
	s_delay_alu instid0(VALU_DEP_3) | instskip(SKIP_1) | instid1(VALU_DEP_2)
	v_mov_b32_e32 v2, v13
	v_mad_co_u64_u32 v[16:17], null, s18, v28, 0
	v_mad_co_u64_u32 v[2:3], null, s19, v3, v[2:3]
	v_mov_b32_e32 v3, v15
	v_add_co_u32 v8, s0, v26, v8
	s_wait_alu 0xf1ff
	v_add_co_ci_u32_e64 v9, s0, v27, v9, s0
	s_clause 0x1
	global_load_b128 v[56:59], v[0:1], off
	global_load_b128 v[44:47], v[8:9], off
	v_dual_mov_b32 v13, v2 :: v_dual_mov_b32 v2, v11
	v_mov_b32_e32 v0, v17
	s_delay_alu instid0(VALU_DEP_2) | instskip(NEXT) | instid1(VALU_DEP_3)
	v_lshlrev_b64_e32 v[8:9], 4, v[12:13]
	v_mad_co_u64_u32 v[18:19], null, s19, v18, v[2:3]
	v_mad_co_u64_u32 v[2:3], null, s19, v24, v[3:4]
	;; [unrolled: 1-line block ×4, first 2 shown]
	s_delay_alu instid0(VALU_DEP_4) | instskip(NEXT) | instid1(VALU_DEP_4)
	v_mov_b32_e32 v11, v18
	v_mov_b32_e32 v15, v2
	v_add_co_u32 v2, s0, v26, v8
	v_mov_b32_e32 v1, v25
	s_wait_alu 0xf1ff
	v_add_co_ci_u32_e64 v3, s0, v27, v9, s0
	v_lshlrev_b64_e32 v[8:9], 4, v[10:11]
	v_mov_b32_e32 v17, v0
	v_mad_co_u64_u32 v[10:11], null, s19, v29, v[1:2]
	v_lshlrev_b64_e32 v[11:12], 4, v[14:15]
	s_delay_alu instid0(VALU_DEP_4) | instskip(SKIP_2) | instid1(VALU_DEP_4)
	v_add_co_u32 v0, s0, v26, v8
	s_wait_alu 0xf1ff
	v_add_co_ci_u32_e64 v1, s0, v27, v9, s0
	v_mov_b32_e32 v25, v10
	v_lshlrev_b64_e32 v[8:9], 4, v[16:17]
	v_add_co_u32 v10, s0, v26, v11
	s_wait_alu 0xf1ff
	v_add_co_ci_u32_e64 v11, s0, v27, v12, s0
	v_lshlrev_b64_e32 v[12:13], 4, v[24:25]
	s_delay_alu instid0(VALU_DEP_4) | instskip(SKIP_2) | instid1(VALU_DEP_3)
	v_add_co_u32 v8, s0, v26, v8
	s_wait_alu 0xf1ff
	v_add_co_ci_u32_e64 v9, s0, v27, v9, s0
	v_add_co_u32 v28, s0, v26, v12
	s_wait_alu 0xf1ff
	v_add_co_ci_u32_e64 v29, s0, v27, v13, s0
	s_clause 0x4
	global_load_b128 v[24:27], v[2:3], off
	global_load_b128 v[16:19], v[0:1], off
	;; [unrolled: 1-line block ×5, first 2 shown]
.LBB0_11:
	s_or_b32 exec_lo, exec_lo, s14
	v_mov_b32_e32 v149, v150
.LBB0_12:
	s_wait_alu 0xfffe
	s_or_b32 exec_lo, exec_lo, s1
	s_wait_loadcnt 0x0
	v_add_f64_e32 v[77:78], v[0:1], v[20:21]
	v_add_f64_e64 v[83:84], v[20:21], -v[0:1]
	s_mov_b32 s10, 0xb2365da1
	s_mov_b32 s12, 0x2ef20147
	;; [unrolled: 1-line block ×15, first 2 shown]
	s_wait_alu 0xfffe
	s_mov_b32 s22, s30
	v_add_f64_e64 v[81:82], v[22:23], -v[2:3]
	v_add_f64_e32 v[79:80], v[8:9], v[36:37]
	v_add_f64_e32 v[85:86], v[2:3], v[22:23]
	v_add_f64_e64 v[91:92], v[36:37], -v[8:9]
	s_mov_b32 s24, 0xe00740e9
	s_mov_b32 s44, 0x4267c47c
	;; [unrolled: 1-line block ×12, first 2 shown]
	v_add_f64_e64 v[143:144], v[38:39], -v[10:11]
	v_add_f64_e32 v[99:100], v[12:13], v[32:33]
	v_add_f64_e64 v[135:136], v[32:33], -v[12:13]
	v_add_f64_e32 v[127:128], v[10:11], v[38:39]
	v_mul_f64_e32 v[87:88], s[10:11], v[77:78]
	v_mul_f64_e32 v[89:90], s[12:13], v[83:84]
	;; [unrolled: 1-line block ×6, first 2 shown]
	s_mov_b32 s34, 0x1ea71119
	s_mov_b32 s36, 0x42a4c3d2
	;; [unrolled: 1-line block ×5, first 2 shown]
	s_wait_alu 0xfffe
	s_mov_b32 s40, s36
	v_add_f64_e64 v[147:148], v[34:35], -v[14:15]
	v_add_f64_e32 v[123:124], v[14:15], v[34:35]
	v_add_f64_e32 v[95:96], v[16:17], v[48:49]
	v_add_f64_e64 v[139:140], v[48:49], -v[16:17]
	v_add_f64_e64 v[145:146], v[50:51], -v[18:19]
	v_add_f64_e32 v[105:106], v[18:19], v[50:51]
	v_add_f64_e64 v[125:126], v[40:41], -v[24:25]
	v_mul_f64_e32 v[133:134], s[4:5], v[79:80]
	v_mul_f64_e32 v[62:63], s[26:27], v[79:80]
	;; [unrolled: 1-line block ×6, first 2 shown]
	s_mov_b32 s47, 0x3fedeba7
	s_mov_b32 s46, s12
	s_mov_b32 s1, exec_lo
	v_mul_f64_e32 v[129:130], s[24:25], v[99:100]
	v_mul_f64_e32 v[131:132], s[28:29], v[135:136]
	;; [unrolled: 1-line block ×3, first 2 shown]
	v_fma_f64 v[60:61], v[81:82], s[12:13], v[87:88]
	v_fma_f64 v[64:65], v[85:86], s[10:11], -v[89:90]
	v_fma_f64 v[68:69], v[81:82], s[14:15], v[28:29]
	v_fma_f64 v[93:94], v[85:86], s[4:5], v[30:31]
	;; [unrolled: 1-line block ×3, first 2 shown]
	v_fma_f64 v[30:31], v[85:86], s[4:5], -v[30:31]
	v_fma_f64 v[101:102], v[81:82], s[30:31], v[52:53]
	v_fma_f64 v[103:104], v[85:86], s[20:21], v[54:55]
	;; [unrolled: 1-line block ×3, first 2 shown]
	v_fma_f64 v[54:55], v[85:86], s[20:21], -v[54:55]
	v_mul_f64_e32 v[109:110], s[40:41], v[135:136]
	v_mul_f64_e32 v[111:112], s[4:5], v[99:100]
	;; [unrolled: 1-line block ×8, first 2 shown]
	v_fma_f64 v[115:116], v[143:144], s[14:15], v[133:134]
	v_fma_f64 v[141:142], v[143:144], s[42:43], v[62:63]
	v_fma_f64 v[119:120], v[127:128], s[4:5], -v[137:138]
	v_fma_f64 v[151:152], v[127:128], s[26:27], v[66:67]
	v_fma_f64 v[62:63], v[143:144], s[38:39], v[62:63]
	v_fma_f64 v[66:67], v[127:128], s[26:27], -v[66:67]
	v_fma_f64 v[153:154], v[143:144], s[44:45], v[70:71]
	v_fma_f64 v[157:158], v[127:128], s[24:25], v[97:98]
	;; [unrolled: 1-line block ×3, first 2 shown]
	v_fma_f64 v[97:98], v[127:128], s[24:25], -v[97:98]
	v_mul_f64_e32 v[165:166], s[36:37], v[139:140]
	v_mul_f64_e32 v[179:180], s[12:13], v[125:126]
	v_fma_f64 v[167:168], v[147:148], s[28:29], v[129:130]
	v_fma_f64 v[169:170], v[123:124], s[24:25], -v[131:132]
	v_fma_f64 v[171:172], v[147:148], s[40:41], v[107:108]
	v_add_f64_e32 v[60:61], v[4:5], v[60:61]
	v_add_f64_e32 v[64:65], v[6:7], v[64:65]
	;; [unrolled: 1-line block ×11, first 2 shown]
	v_fma_f64 v[173:174], v[123:124], s[34:35], -v[109:110]
	v_fma_f64 v[175:176], v[147:148], s[14:15], v[111:112]
	v_fma_f64 v[177:178], v[147:148], s[18:19], v[111:112]
	v_add_f64_e64 v[111:112], v[56:57], -v[44:45]
	v_fma_f64 v[181:182], v[145:146], s[42:43], v[117:118]
	v_fma_f64 v[183:184], v[105:106], s[26:27], -v[121:122]
	v_fma_f64 v[185:186], v[145:146], s[40:41], v[163:164]
	v_fma_f64 v[163:164], v[145:146], s[36:37], v[163:164]
	;; [unrolled: 1-line block ×3, first 2 shown]
	v_fma_f64 v[165:166], v[105:106], s[34:35], -v[165:166]
	v_add_f64_e32 v[60:61], v[115:116], v[60:61]
	v_fma_f64 v[115:116], v[147:148], s[36:37], v[107:108]
	v_add_f64_e32 v[64:65], v[119:120], v[64:65]
	v_fma_f64 v[119:120], v[123:124], s[34:35], v[109:110]
	v_add_f64_e32 v[68:69], v[141:142], v[68:69]
	v_add_f64_e32 v[151:152], v[151:152], v[155:156]
	v_fma_f64 v[155:156], v[123:124], s[4:5], v[113:114]
	v_fma_f64 v[113:114], v[123:124], s[4:5], -v[113:114]
	v_add_f64_e32 v[28:29], v[62:63], v[28:29]
	v_add_f64_e32 v[30:31], v[66:67], v[30:31]
	;; [unrolled: 1-line block ×6, first 2 shown]
	v_add_f64_e64 v[141:142], v[42:43], -v[26:27]
	v_add_f64_e32 v[101:102], v[26:27], v[42:43]
	v_add_f64_e32 v[97:98], v[44:45], v[56:57]
	v_mul_f64_e32 v[107:108], s[20:21], v[93:94]
	v_mul_f64_e32 v[109:110], s[30:31], v[125:126]
	;; [unrolled: 1-line block ×5, first 2 shown]
	v_add_f64_e32 v[103:104], v[46:47], v[58:59]
	v_add_f64_e32 v[60:61], v[167:168], v[60:61]
	v_fma_f64 v[167:168], v[145:146], s[22:23], v[159:160]
	v_add_f64_e32 v[64:65], v[169:170], v[64:65]
	v_fma_f64 v[169:170], v[105:106], s[20:21], v[161:162]
	v_fma_f64 v[159:160], v[145:146], s[30:31], v[159:160]
	v_fma_f64 v[161:162], v[105:106], s[20:21], -v[161:162]
	v_add_f64_e32 v[68:69], v[115:116], v[68:69]
	v_add_f64_e32 v[151:152], v[119:120], v[151:152]
	;; [unrolled: 1-line block ×8, first 2 shown]
	v_add_f64_e64 v[119:120], v[58:59], -v[46:47]
	v_mul_f64_e32 v[115:116], s[36:37], v[111:112]
	v_mul_f64_e32 v[113:114], s[34:35], v[97:98]
	;; [unrolled: 1-line block ×6, first 2 shown]
	v_fma_f64 v[177:178], v[141:142], s[30:31], v[107:108]
	v_fma_f64 v[189:190], v[101:102], s[20:21], -v[109:110]
	v_add_f64_e32 v[60:61], v[181:182], v[60:61]
	v_fma_f64 v[181:182], v[141:142], s[44:45], v[70:71]
	v_add_f64_e32 v[64:65], v[183:184], v[64:65]
	v_fma_f64 v[183:184], v[101:102], s[24:25], v[153:154]
	v_fma_f64 v[70:71], v[141:142], s[28:29], v[70:71]
	v_fma_f64 v[153:154], v[101:102], s[24:25], -v[153:154]
	v_add_f64_e32 v[68:69], v[167:168], v[68:69]
	v_fma_f64 v[167:168], v[141:142], s[46:47], v[157:158]
	v_add_f64_e32 v[151:152], v[169:170], v[151:152]
	v_fma_f64 v[169:170], v[101:102], s[10:11], v[179:180]
	v_fma_f64 v[157:158], v[141:142], s[12:13], v[157:158]
	v_fma_f64 v[179:180], v[101:102], s[10:11], -v[179:180]
	v_add_f64_e32 v[28:29], v[159:160], v[28:29]
	v_add_f64_e32 v[30:31], v[161:162], v[30:31]
	;; [unrolled: 1-line block ×6, first 2 shown]
	v_fma_f64 v[159:160], v[119:120], s[36:37], v[113:114]
	v_fma_f64 v[161:162], v[103:104], s[34:35], -v[115:116]
	v_fma_f64 v[163:164], v[119:120], s[46:47], v[155:156]
	v_fma_f64 v[165:166], v[103:104], s[10:11], v[171:172]
	;; [unrolled: 1-line block ×3, first 2 shown]
	v_fma_f64 v[171:172], v[103:104], s[10:11], -v[171:172]
	v_fma_f64 v[185:186], v[119:120], s[42:43], v[173:174]
	v_fma_f64 v[187:188], v[103:104], s[26:27], v[175:176]
	;; [unrolled: 1-line block ×3, first 2 shown]
	v_fma_f64 v[175:176], v[103:104], s[26:27], -v[175:176]
	v_add_f64_e32 v[60:61], v[177:178], v[60:61]
	v_add_f64_e32 v[64:65], v[189:190], v[64:65]
	;; [unrolled: 1-line block ×14, first 2 shown]
	v_mul_hi_u32 v151, 0xaaaaaaab, v76
	v_add_f64_e32 v[64:65], v[155:156], v[181:182]
	v_add_f64_e32 v[66:67], v[171:172], v[153:154]
	;; [unrolled: 1-line block ×6, first 2 shown]
	v_lshrrev_b32_e32 v151, 1, v151
	s_delay_alu instid0(VALU_DEP_1) | instskip(NEXT) | instid1(VALU_DEP_1)
	v_lshl_add_u32 v151, v151, 1, v151
	v_sub_nc_u32_e32 v76, v76, v151
	s_delay_alu instid0(VALU_DEP_1) | instskip(NEXT) | instid1(VALU_DEP_1)
	v_mul_u32_u24_e32 v76, 0x249, v76
	v_lshlrev_b32_e32 v76, 4, v76
	v_cmpx_gt_u32_e32 45, v150
	s_cbranch_execz .LBB0_14
; %bb.13:
	v_add_f64_e32 v[22:23], v[22:23], v[6:7]
	v_add_f64_e32 v[20:21], v[20:21], v[4:5]
	v_mul_f64_e32 v[151:152], s[22:23], v[91:92]
	v_mul_f64_e32 v[153:154], s[22:23], v[143:144]
	;; [unrolled: 1-line block ×8, first 2 shown]
	v_add_f64_e32 v[22:23], v[38:39], v[22:23]
	v_add_f64_e32 v[20:21], v[36:37], v[20:21]
	v_mul_f64_e32 v[36:37], s[42:43], v[83:84]
	v_mul_f64_e32 v[38:39], s[42:43], v[81:82]
	v_fma_f64 v[171:172], v[127:128], s[10:11], -v[155:156]
	v_fma_f64 v[173:174], v[79:80], s[10:11], v[157:158]
	v_fma_f64 v[155:156], v[127:128], s[10:11], v[155:156]
	v_fma_f64 v[157:158], v[79:80], s[10:11], -v[157:158]
	v_fma_f64 v[175:176], v[127:128], s[34:35], -v[91:92]
	v_fma_f64 v[91:92], v[127:128], s[34:35], v[91:92]
	v_fma_f64 v[179:180], v[123:124], s[20:21], -v[167:168]
	v_fma_f64 v[181:182], v[99:100], s[20:21], v[169:170]
	v_fma_f64 v[167:168], v[123:124], s[20:21], v[167:168]
	v_fma_f64 v[169:170], v[99:100], s[20:21], -v[169:170]
	v_add_f64_e32 v[22:23], v[34:35], v[22:23]
	v_add_f64_e32 v[20:21], v[32:33], v[20:21]
	v_mul_f64_e32 v[32:33], s[10:11], v[85:86]
	v_mul_f64_e32 v[34:35], s[12:13], v[81:82]
	s_delay_alu instid0(VALU_DEP_4) | instskip(NEXT) | instid1(VALU_DEP_4)
	v_add_f64_e32 v[22:23], v[50:51], v[22:23]
	v_add_f64_e32 v[20:21], v[48:49], v[20:21]
	v_mul_f64_e32 v[48:49], s[40:41], v[83:84]
	v_mul_f64_e32 v[50:51], s[40:41], v[81:82]
	;; [unrolled: 1-line block ×3, first 2 shown]
	v_add_f64_e32 v[32:33], v[32:33], v[89:90]
	v_add_f64_e64 v[34:35], v[87:88], -v[34:35]
	v_fma_f64 v[87:88], v[85:86], s[26:27], -v[36:37]
	v_fma_f64 v[89:90], v[77:78], s[26:27], v[38:39]
	v_fma_f64 v[36:37], v[85:86], s[26:27], v[36:37]
	v_fma_f64 v[38:39], v[77:78], s[26:27], -v[38:39]
	v_add_f64_e32 v[22:23], v[42:43], v[22:23]
	v_add_f64_e32 v[20:21], v[40:41], v[20:21]
	v_mul_f64_e32 v[40:41], s[44:45], v[81:82]
	v_mul_f64_e32 v[42:43], s[4:5], v[127:128]
	;; [unrolled: 1-line block ×4, first 2 shown]
	v_fma_f64 v[159:160], v[85:86], s[34:35], v[48:49]
	v_fma_f64 v[161:162], v[77:78], s[34:35], -v[50:51]
	v_fma_f64 v[48:49], v[85:86], s[34:35], -v[48:49]
	v_fma_f64 v[50:51], v[77:78], s[34:35], v[50:51]
	v_fma_f64 v[163:164], v[85:86], s[24:25], -v[83:84]
	v_fma_f64 v[83:84], v[85:86], s[24:25], v[83:84]
	v_mul_f64_e32 v[85:86], s[46:47], v[135:136]
	v_add_f64_e32 v[32:33], v[6:7], v[32:33]
	v_add_f64_e32 v[34:35], v[4:5], v[34:35]
	;; [unrolled: 1-line block ×6, first 2 shown]
	v_mul_f64_e32 v[135:136], s[42:43], v[135:136]
	v_add_f64_e32 v[22:23], v[58:59], v[22:23]
	v_add_f64_e32 v[20:21], v[56:57], v[20:21]
	v_fma_f64 v[56:57], v[77:78], s[24:25], -v[40:41]
	v_fma_f64 v[40:41], v[77:78], s[24:25], v[40:41]
	v_mul_f64_e32 v[58:59], s[28:29], v[147:148]
	v_mul_f64_e32 v[77:78], s[24:25], v[123:124]
	v_add_f64_e32 v[42:43], v[42:43], v[137:138]
	v_add_f64_e64 v[81:82], v[133:134], -v[81:82]
	v_fma_f64 v[133:134], v[127:128], s[20:21], -v[151:152]
	v_fma_f64 v[137:138], v[79:80], s[20:21], v[153:154]
	v_fma_f64 v[151:152], v[127:128], s[20:21], v[151:152]
	v_fma_f64 v[153:154], v[79:80], s[20:21], -v[153:154]
	v_fma_f64 v[177:178], v[79:80], s[34:35], v[143:144]
	v_fma_f64 v[79:80], v[79:80], s[34:35], -v[143:144]
	v_add_f64_e32 v[127:128], v[6:7], v[159:160]
	v_add_f64_e32 v[143:144], v[4:5], v[161:162]
	;; [unrolled: 1-line block ×5, first 2 shown]
	v_mul_f64_e32 v[147:148], s[42:43], v[147:148]
	v_add_f64_e32 v[6:7], v[6:7], v[83:84]
	v_mul_f64_e32 v[83:84], s[28:29], v[145:146]
	v_mul_f64_e32 v[161:162], s[14:15], v[139:140]
	;; [unrolled: 1-line block ×3, first 2 shown]
	v_fma_f64 v[183:184], v[123:124], s[26:27], -v[135:136]
	v_add_f64_e32 v[22:23], v[46:47], v[22:23]
	v_add_f64_e32 v[20:21], v[44:45], v[20:21]
	;; [unrolled: 1-line block ×4, first 2 shown]
	v_mul_f64_e32 v[40:41], s[42:43], v[145:146]
	v_mul_f64_e32 v[46:47], s[26:27], v[105:106]
	;; [unrolled: 1-line block ×3, first 2 shown]
	v_add_f64_e32 v[77:78], v[77:78], v[131:132]
	v_add_f64_e64 v[58:59], v[129:130], -v[58:59]
	v_fma_f64 v[129:130], v[123:124], s[10:11], -v[85:86]
	v_fma_f64 v[131:132], v[99:100], s[10:11], v[165:166]
	v_fma_f64 v[85:86], v[123:124], s[10:11], v[85:86]
	v_add_f64_e32 v[32:33], v[42:43], v[32:33]
	v_add_f64_e32 v[34:35], v[81:82], v[34:35]
	;; [unrolled: 1-line block ×7, first 2 shown]
	v_fma_f64 v[165:166], v[99:100], s[10:11], -v[165:166]
	v_add_f64_e32 v[38:39], v[153:154], v[38:39]
	v_add_f64_e32 v[48:49], v[171:172], v[48:49]
	;; [unrolled: 1-line block ×3, first 2 shown]
	v_mul_f64_e32 v[139:140], s[12:13], v[139:140]
	v_add_f64_e32 v[127:128], v[175:176], v[159:160]
	v_mul_f64_e32 v[145:146], s[12:13], v[145:146]
	v_fma_f64 v[185:186], v[99:100], s[26:27], v[147:148]
	v_fma_f64 v[123:124], v[123:124], s[26:27], v[135:136]
	v_fma_f64 v[99:100], v[99:100], s[26:27], -v[147:148]
	v_add_f64_e32 v[6:7], v[91:92], v[6:7]
	v_mul_f64_e32 v[91:92], s[40:41], v[141:142]
	v_mul_f64_e32 v[133:134], s[38:39], v[125:126]
	;; [unrolled: 1-line block ×3, first 2 shown]
	v_fma_f64 v[147:148], v[105:106], s[4:5], v[161:162]
	v_fma_f64 v[151:152], v[95:96], s[4:5], -v[163:164]
	v_mul_f64_e32 v[137:138], s[18:19], v[141:142]
	v_fma_f64 v[143:144], v[95:96], s[4:5], v[163:164]
	v_add_f64_e32 v[22:23], v[26:27], v[22:23]
	v_add_f64_e32 v[20:21], v[24:25], v[20:21]
	;; [unrolled: 1-line block ×4, first 2 shown]
	v_mul_f64_e32 v[26:27], s[30:31], v[141:142]
	v_mul_f64_e32 v[44:45], s[20:21], v[101:102]
	v_mul_f64_e32 v[79:80], s[40:41], v[125:126]
	v_add_f64_e32 v[46:47], v[46:47], v[121:122]
	v_add_f64_e64 v[40:41], v[117:118], -v[40:41]
	v_fma_f64 v[117:118], v[105:106], s[24:25], -v[56:57]
	v_fma_f64 v[121:122], v[95:96], s[24:25], v[83:84]
	v_fma_f64 v[56:57], v[105:106], s[24:25], v[56:57]
	v_add_f64_e32 v[32:33], v[77:78], v[32:33]
	v_add_f64_e32 v[34:35], v[58:59], v[34:35]
	;; [unrolled: 1-line block ×7, first 2 shown]
	v_fma_f64 v[83:84], v[95:96], s[24:25], -v[83:84]
	v_add_f64_e32 v[38:39], v[165:166], v[38:39]
	v_fma_f64 v[141:142], v[105:106], s[4:5], -v[161:162]
	v_add_f64_e32 v[48:49], v[179:180], v[48:49]
	v_add_f64_e32 v[50:51], v[181:182], v[50:51]
	v_mul_f64_e32 v[125:126], s[18:19], v[125:126]
	v_fma_f64 v[153:154], v[105:106], s[10:11], -v[139:140]
	v_add_f64_e32 v[85:86], v[183:184], v[127:128]
	v_fma_f64 v[155:156], v[95:96], s[10:11], v[145:146]
	v_fma_f64 v[105:106], v[105:106], s[10:11], v[139:140]
	v_fma_f64 v[95:96], v[95:96], s[10:11], -v[145:146]
	v_add_f64_e32 v[6:7], v[123:124], v[6:7]
	v_mul_f64_e32 v[87:88], s[18:19], v[111:112]
	v_mul_f64_e32 v[89:90], s[18:19], v[119:120]
	;; [unrolled: 1-line block ×3, first 2 shown]
	v_fma_f64 v[127:128], v[101:102], s[26:27], -v[133:134]
	v_fma_f64 v[131:132], v[101:102], s[26:27], v[133:134]
	v_fma_f64 v[133:134], v[93:94], s[26:27], -v[135:136]
	v_fma_f64 v[129:130], v[93:94], s[26:27], v[135:136]
	v_add_f64_e32 v[18:19], v[18:19], v[22:23]
	v_add_f64_e32 v[16:17], v[16:17], v[20:21]
	;; [unrolled: 1-line block ×4, first 2 shown]
	v_mul_f64_e32 v[22:23], s[36:37], v[119:120]
	v_mul_f64_e32 v[24:25], s[34:35], v[103:104]
	;; [unrolled: 1-line block ×3, first 2 shown]
	v_add_f64_e32 v[44:45], v[44:45], v[109:110]
	v_add_f64_e64 v[26:27], v[107:108], -v[26:27]
	v_fma_f64 v[107:108], v[101:102], s[34:35], -v[79:80]
	v_fma_f64 v[109:110], v[93:94], s[34:35], v[91:92]
	v_fma_f64 v[79:80], v[101:102], s[34:35], v[79:80]
	v_add_f64_e32 v[32:33], v[46:47], v[32:33]
	v_add_f64_e32 v[34:35], v[40:41], v[34:35]
	;; [unrolled: 1-line block ×7, first 2 shown]
	v_fma_f64 v[91:92], v[93:94], s[34:35], -v[91:92]
	v_add_f64_e32 v[38:39], v[83:84], v[38:39]
	v_mul_f64_e32 v[111:112], s[22:23], v[111:112]
	v_add_f64_e32 v[48:49], v[141:142], v[48:49]
	v_add_f64_e32 v[50:51], v[143:144], v[50:51]
	v_fma_f64 v[135:136], v[101:102], s[4:5], -v[125:126]
	v_mul_f64_e32 v[119:120], s[22:23], v[119:120]
	v_add_f64_e32 v[58:59], v[153:154], v[85:86]
	v_fma_f64 v[139:140], v[93:94], s[4:5], v[137:138]
	v_fma_f64 v[101:102], v[101:102], s[4:5], v[125:126]
	v_fma_f64 v[93:94], v[93:94], s[4:5], -v[137:138]
	v_add_f64_e32 v[6:7], v[105:106], v[6:7]
	v_fma_f64 v[77:78], v[103:104], s[4:5], v[87:88]
	v_fma_f64 v[81:82], v[97:98], s[4:5], -v[89:90]
	v_fma_f64 v[85:86], v[97:98], s[24:25], v[123:124]
	v_add_f64_e32 v[14:15], v[14:15], v[18:19]
	v_add_f64_e32 v[12:13], v[12:13], v[16:17]
	;; [unrolled: 1-line block ×4, first 2 shown]
	v_add_f64_e64 v[20:21], v[113:114], -v[22:23]
	v_add_f64_e32 v[18:19], v[24:25], v[115:116]
	v_fma_f64 v[22:23], v[103:104], s[4:5], -v[87:88]
	v_fma_f64 v[24:25], v[97:98], s[4:5], v[89:90]
	v_fma_f64 v[87:88], v[103:104], s[24:25], v[99:100]
	v_fma_f64 v[89:90], v[97:98], s[24:25], -v[123:124]
	v_fma_f64 v[83:84], v[103:104], s[24:25], -v[99:100]
	v_add_f64_e32 v[32:33], v[44:45], v[32:33]
	v_add_f64_e32 v[26:27], v[26:27], v[34:35]
	;; [unrolled: 1-line block ×8, first 2 shown]
	v_fma_f64 v[95:96], v[103:104], s[20:21], -v[111:112]
	v_add_f64_e32 v[46:47], v[127:128], v[48:49]
	v_add_f64_e32 v[48:49], v[129:130], v[50:51]
	v_fma_f64 v[103:104], v[103:104], s[20:21], v[111:112]
	v_fma_f64 v[99:100], v[97:98], s[20:21], v[119:120]
	v_add_f64_e32 v[50:51], v[135:136], v[58:59]
	v_fma_f64 v[97:98], v[97:98], s[20:21], -v[119:120]
	v_add_f64_e32 v[56:57], v[101:102], v[6:7]
	v_add_f64_e32 v[58:59], v[10:11], v[14:15]
	v_add_f64_e32 v[79:80], v[8:9], v[12:13]
	v_add_f64_e32 v[91:92], v[93:94], v[16:17]
	v_add_f64_e32 v[93:94], v[139:140], v[4:5]
	v_add_f64_e32 v[6:7], v[18:19], v[32:33]
	v_add_f64_e32 v[4:5], v[20:21], v[26:27]
	v_add_f64_e32 v[10:11], v[22:23], v[34:35]
	v_add_f64_e32 v[8:9], v[24:25], v[40:41]
	v_add_f64_e32 v[14:15], v[77:78], v[36:37]
	v_add_f64_e32 v[18:19], v[87:88], v[42:43]
	v_add_f64_e32 v[16:17], v[89:90], v[44:45]
	v_mul_u32_u24_e32 v36, 0xd0, v150
	v_add_f64_e32 v[12:13], v[81:82], v[38:39]
	v_add_f64_e32 v[22:23], v[83:84], v[46:47]
	;; [unrolled: 1-line block ×3, first 2 shown]
	s_delay_alu instid0(VALU_DEP_4)
	v_add3_u32 v36, 0, v36, v76
	v_add_f64_e32 v[26:27], v[95:96], v[50:51]
	v_add_f64_e32 v[34:35], v[103:104], v[56:57]
	;; [unrolled: 1-line block ×6, first 2 shown]
	ds_store_b128 v36, v[52:55] offset:96
	ds_store_b128 v36, v[60:63] offset:112
	;; [unrolled: 1-line block ×10, first 2 shown]
	ds_store_b128 v36, v[0:3]
	ds_store_b128 v36, v[32:35] offset:16
	ds_store_b128 v36, v[24:27] offset:192
.LBB0_14:
	s_wait_alu 0xfffe
	s_or_b32 exec_lo, exec_lo, s1
	v_lshlrev_b32_e32 v0, 4, v150
	global_wb scope:SCOPE_SE
	s_wait_dscnt 0x0
	s_barrier_signal -1
	s_barrier_wait -1
	global_inv scope:SCOPE_SE
	v_add3_u32 v21, 0, v76, v0
	v_add3_u32 v20, 0, v0, v76
	v_cmp_gt_u32_e64 s0, 52, v150
	ds_load_b128 v[0:3], v21
	ds_load_b128 v[16:19], v20 offset:1872
	ds_load_b128 v[4:7], v20 offset:3744
	;; [unrolled: 1-line block ×4, first 2 shown]
	s_and_saveexec_b32 s1, s0
	s_cbranch_execz .LBB0_16
; %bb.15:
	ds_load_b128 v[28:31], v20 offset:1040
	ds_load_b128 v[52:55], v20 offset:2912
	;; [unrolled: 1-line block ×5, first 2 shown]
.LBB0_16:
	s_wait_alu 0xfffe
	s_or_b32 exec_lo, exec_lo, s1
	v_and_b32_e32 v22, 0xff, v150
	s_mov_b32 s4, 0x134454ff
	s_mov_b32 s5, 0x3fee6f0e
	;; [unrolled: 1-line block ×3, first 2 shown]
	s_wait_alu 0xfffe
	s_mov_b32 s10, s4
	v_mul_lo_u16 v22, 0x4f, v22
	s_mov_b32 s14, 0x4755a5e
	s_mov_b32 s15, 0x3fe2cf23
	;; [unrolled: 1-line block ×3, first 2 shown]
	s_wait_alu 0xfffe
	s_mov_b32 s12, s14
	v_lshrrev_b16 v79, 10, v22
	s_mov_b32 s18, 0x372fe950
	s_mov_b32 s19, 0x3fd3c6ef
	s_delay_alu instid0(VALU_DEP_1) | instskip(NEXT) | instid1(VALU_DEP_1)
	v_mul_lo_u16 v22, v79, 13
	v_sub_nc_u16 v22, v150, v22
	s_delay_alu instid0(VALU_DEP_1) | instskip(NEXT) | instid1(VALU_DEP_1)
	v_and_b32_e32 v80, 0xff, v22
	v_lshlrev_b32_e32 v26, 6, v80
	s_clause 0x3
	global_load_b128 v[22:25], v26, s[8:9]
	global_load_b128 v[32:35], v26, s[8:9] offset:16
	global_load_b128 v[36:39], v26, s[8:9] offset:32
	global_load_b128 v[40:43], v26, s[8:9] offset:48
	global_wb scope:SCOPE_SE
	s_wait_loadcnt_dscnt 0x0
	s_barrier_signal -1
	s_barrier_wait -1
	global_inv scope:SCOPE_SE
	v_mul_f64_e32 v[26:27], v[18:19], v[24:25]
	v_mul_f64_e32 v[44:45], v[6:7], v[34:35]
	;; [unrolled: 1-line block ×8, first 2 shown]
	v_fma_f64 v[16:17], v[16:17], v[22:23], -v[26:27]
	v_fma_f64 v[4:5], v[4:5], v[32:33], -v[44:45]
	;; [unrolled: 1-line block ×4, first 2 shown]
	v_fma_f64 v[6:7], v[6:7], v[32:33], v[34:35]
	v_fma_f64 v[10:11], v[10:11], v[36:37], v[38:39]
	;; [unrolled: 1-line block ×4, first 2 shown]
	v_add_f64_e32 v[34:35], v[0:1], v[16:17]
	v_add_f64_e32 v[22:23], v[4:5], v[8:9]
	;; [unrolled: 1-line block ×3, first 2 shown]
	v_add_f64_e64 v[42:43], v[16:17], -v[12:13]
	v_add_f64_e32 v[26:27], v[6:7], v[10:11]
	v_add_f64_e32 v[40:41], v[2:3], v[18:19]
	;; [unrolled: 1-line block ×3, first 2 shown]
	v_add_f64_e64 v[36:37], v[18:19], -v[14:15]
	v_add_f64_e64 v[38:39], v[6:7], -v[10:11]
	;; [unrolled: 1-line block ×8, first 2 shown]
	v_fma_f64 v[22:23], v[22:23], -0.5, v[0:1]
	v_fma_f64 v[0:1], v[24:25], -0.5, v[0:1]
	v_add_f64_e64 v[24:25], v[4:5], -v[8:9]
	v_fma_f64 v[26:27], v[26:27], -0.5, v[2:3]
	v_add_f64_e32 v[6:7], v[40:41], v[6:7]
	v_fma_f64 v[2:3], v[32:33], -0.5, v[2:3]
	v_add_f64_e64 v[32:33], v[16:17], -v[4:5]
	v_add_f64_e64 v[16:17], v[4:5], -v[16:17]
	v_add_f64_e32 v[4:5], v[34:35], v[4:5]
	v_add_f64_e32 v[18:19], v[18:19], v[56:57]
	v_fma_f64 v[34:35], v[36:37], s[4:5], v[22:23]
	v_fma_f64 v[22:23], v[36:37], s[10:11], v[22:23]
	;; [unrolled: 1-line block ×8, first 2 shown]
	v_add_f64_e32 v[4:5], v[4:5], v[8:9]
	v_add_f64_e32 v[6:7], v[6:7], v[10:11]
	;; [unrolled: 1-line block ×5, first 2 shown]
	v_fma_f64 v[8:9], v[38:39], s[14:15], v[34:35]
	s_wait_alu 0xfffe
	v_fma_f64 v[10:11], v[38:39], s[12:13], v[22:23]
	v_fma_f64 v[22:23], v[36:37], s[14:15], v[40:41]
	;; [unrolled: 1-line block ×7, first 2 shown]
	v_add_f64_e32 v[0:1], v[4:5], v[12:13]
	v_add_f64_e32 v[2:3], v[6:7], v[14:15]
	v_fma_f64 v[4:5], v[32:33], s[18:19], v[8:9]
	v_fma_f64 v[8:9], v[32:33], s[18:19], v[10:11]
	;; [unrolled: 1-line block ×8, first 2 shown]
	v_and_b32_e32 v22, 0xffff, v79
	v_lshlrev_b32_e32 v23, 4, v80
	s_delay_alu instid0(VALU_DEP_2) | instskip(NEXT) | instid1(VALU_DEP_1)
	v_mad_u32_u24 v22, 0x410, v22, 0
	v_add3_u32 v22, v22, v23, v76
	ds_store_b128 v22, v[0:3]
	ds_store_b128 v22, v[4:7] offset:208
	ds_store_b128 v22, v[12:15] offset:416
	;; [unrolled: 1-line block ×4, first 2 shown]
	s_and_saveexec_b32 s1, s0
	s_cbranch_execz .LBB0_18
; %bb.17:
	v_add_nc_u16 v0, v150, 0x41
	s_delay_alu instid0(VALU_DEP_1) | instskip(NEXT) | instid1(VALU_DEP_1)
	v_and_b32_e32 v1, 0xff, v0
	v_mul_lo_u16 v1, 0x4f, v1
	s_delay_alu instid0(VALU_DEP_1) | instskip(NEXT) | instid1(VALU_DEP_1)
	v_lshrrev_b16 v56, 10, v1
	v_mul_lo_u16 v1, v56, 13
	s_delay_alu instid0(VALU_DEP_1) | instskip(NEXT) | instid1(VALU_DEP_1)
	v_sub_nc_u16 v0, v0, v1
	v_and_b32_e32 v57, 0xff, v0
	s_delay_alu instid0(VALU_DEP_1)
	v_lshlrev_b32_e32 v12, 6, v57
	s_clause 0x3
	global_load_b128 v[0:3], v12, s[8:9] offset:16
	global_load_b128 v[4:7], v12, s[8:9]
	global_load_b128 v[8:11], v12, s[8:9] offset:48
	global_load_b128 v[12:15], v12, s[8:9] offset:32
	s_wait_loadcnt 0x3
	v_mul_f64_e32 v[16:17], v[60:61], v[2:3]
	s_wait_loadcnt 0x2
	v_mul_f64_e32 v[18:19], v[52:53], v[6:7]
	;; [unrolled: 2-line block ×4, first 2 shown]
	v_mul_f64_e32 v[2:3], v[62:63], v[2:3]
	v_mul_f64_e32 v[14:15], v[66:67], v[14:15]
	;; [unrolled: 1-line block ×4, first 2 shown]
	v_fma_f64 v[16:17], v[62:63], v[0:1], v[16:17]
	v_fma_f64 v[18:19], v[54:55], v[4:5], v[18:19]
	;; [unrolled: 1-line block ×4, first 2 shown]
	v_fma_f64 v[0:1], v[60:61], v[0:1], -v[2:3]
	v_fma_f64 v[2:3], v[64:65], v[12:13], -v[14:15]
	;; [unrolled: 1-line block ×4, first 2 shown]
	v_add_f64_e32 v[34:35], v[30:31], v[18:19]
	v_add_f64_e32 v[8:9], v[18:19], v[22:23]
	;; [unrolled: 1-line block ×3, first 2 shown]
	v_add_f64_e64 v[38:39], v[16:17], -v[24:25]
	v_add_f64_e32 v[12:13], v[0:1], v[2:3]
	v_add_f64_e32 v[36:37], v[28:29], v[4:5]
	;; [unrolled: 1-line block ×3, first 2 shown]
	v_add_f64_e64 v[26:27], v[4:5], -v[6:7]
	v_add_f64_e64 v[32:33], v[0:1], -v[2:3]
	;; [unrolled: 1-line block ×8, first 2 shown]
	v_fma_f64 v[8:9], v[8:9], -0.5, v[30:31]
	v_fma_f64 v[10:11], v[10:11], -0.5, v[30:31]
	v_add_f64_e64 v[30:31], v[18:19], -v[22:23]
	v_fma_f64 v[12:13], v[12:13], -0.5, v[28:29]
	v_add_f64_e32 v[0:1], v[36:37], v[0:1]
	v_fma_f64 v[14:15], v[14:15], -0.5, v[28:29]
	v_add_f64_e64 v[28:29], v[16:17], -v[18:19]
	v_add_f64_e64 v[18:19], v[18:19], -v[16:17]
	v_add_f64_e32 v[16:17], v[34:35], v[16:17]
	v_fma_f64 v[34:35], v[32:33], s[10:11], v[8:9]
	v_fma_f64 v[8:9], v[32:33], s[4:5], v[8:9]
	;; [unrolled: 1-line block ×8, first 2 shown]
	v_add_f64_e32 v[18:19], v[18:19], v[42:43]
	v_add_f64_e32 v[42:43], v[4:5], v[48:49]
	;; [unrolled: 1-line block ×6, first 2 shown]
	v_fma_f64 v[16:17], v[26:27], s[14:15], v[34:35]
	v_fma_f64 v[8:9], v[26:27], s[12:13], v[8:9]
	;; [unrolled: 1-line block ×8, first 2 shown]
	v_add_f64_e32 v[2:3], v[4:5], v[22:23]
	v_add_f64_e32 v[0:1], v[0:1], v[6:7]
	v_and_b32_e32 v22, 0xffff, v56
	v_lshlrev_b32_e32 v23, 4, v57
	s_delay_alu instid0(VALU_DEP_2) | instskip(NEXT) | instid1(VALU_DEP_1)
	v_mad_u32_u24 v22, 0x410, v22, 0
	v_add3_u32 v22, v22, v23, v76
	v_fma_f64 v[6:7], v[28:29], s[18:19], v[16:17]
	v_fma_f64 v[10:11], v[28:29], s[18:19], v[8:9]
	;; [unrolled: 1-line block ×8, first 2 shown]
	ds_store_b128 v22, v[0:3]
	ds_store_b128 v22, v[16:19] offset:208
	ds_store_b128 v22, v[8:11] offset:416
	ds_store_b128 v22, v[4:7] offset:624
	ds_store_b128 v22, v[12:15] offset:832
.LBB0_18:
	s_wait_alu 0xfffe
	s_or_b32 exec_lo, exec_lo, s1
	global_wb scope:SCOPE_SE
	s_wait_dscnt 0x0
	s_barrier_signal -1
	s_barrier_wait -1
	global_inv scope:SCOPE_SE
	s_and_saveexec_b32 s0, vcc_lo
	s_cbranch_execz .LBB0_20
; %bb.19:
	v_dual_mov_b32 v1, 0 :: v_dual_lshlrev_b32 v0, 3, v150
	s_mov_b32 s0, 0x8c811c17
	s_mov_b32 s1, 0x3fef838b
	;; [unrolled: 1-line block ×4, first 2 shown]
	v_lshlrev_b64_e32 v[0:1], 4, v[0:1]
	v_mul_lo_u32 v96, s2, v75
	v_mul_lo_u32 v95, s3, v74
	s_mov_b32 s3, 0xbfebb67a
	v_add_nc_u32_e32 v98, 0x82, v149
	v_add_nc_u32_e32 v100, 0x104, v149
	v_add_co_u32 v30, vcc_lo, s8, v0
	s_wait_alu 0xfffd
	v_add_co_ci_u32_e32 v31, vcc_lo, s9, v1, vcc_lo
	s_mov_b32 s8, 0xa2cf5039
	s_mov_b32 s9, 0x3fe8836f
	s_clause 0x7
	global_load_b128 v[0:3], v[30:31], off offset:880
	global_load_b128 v[4:7], v[30:31], off offset:896
	;; [unrolled: 1-line block ×8, first 2 shown]
	ds_load_b128 v[34:37], v20 offset:4160
	ds_load_b128 v[38:41], v20 offset:5200
	v_add_nc_u32_e32 v102, 0x186, v149
	v_lshlrev_b64_e32 v[72:73], 4, v[72:73]
	s_wait_loadcnt_dscnt 0x701
	v_mul_f64_e32 v[68:69], v[2:3], v[36:37]
	s_wait_loadcnt_dscnt 0x600
	v_mul_f64_e32 v[70:71], v[6:7], v[40:41]
	v_mul_f64_e32 v[36:37], v[0:1], v[36:37]
	;; [unrolled: 1-line block ×3, first 2 shown]
	ds_load_b128 v[40:43], v20 offset:2080
	ds_load_b128 v[44:47], v20 offset:7280
	;; [unrolled: 1-line block ×4, first 2 shown]
	ds_load_b128 v[56:59], v21
	ds_load_b128 v[60:63], v20 offset:3120
	ds_load_b128 v[64:67], v20 offset:6240
	s_wait_loadcnt_dscnt 0x506
	v_mul_f64_e32 v[78:79], v[10:11], v[42:43]
	s_wait_loadcnt_dscnt 0x405
	v_mul_f64_e32 v[80:81], v[14:15], v[46:47]
	v_mul_f64_e32 v[42:43], v[8:9], v[42:43]
	;; [unrolled: 1-line block ×3, first 2 shown]
	s_wait_loadcnt_dscnt 0x304
	v_mul_f64_e32 v[82:83], v[16:17], v[50:51]
	s_wait_loadcnt_dscnt 0x203
	v_mul_f64_e32 v[84:85], v[22:23], v[54:55]
	v_mul_f64_e32 v[50:51], v[18:19], v[50:51]
	;; [unrolled: 1-line block ×3, first 2 shown]
	s_wait_loadcnt_dscnt 0x101
	v_mul_f64_e32 v[20:21], v[28:29], v[62:63]
	v_fma_f64 v[0:1], v[0:1], v[34:35], -v[68:69]
	v_fma_f64 v[4:5], v[4:5], v[38:39], -v[70:71]
	v_fma_f64 v[2:3], v[34:35], v[2:3], v[36:37]
	v_fma_f64 v[6:7], v[38:39], v[6:7], v[76:77]
	s_wait_loadcnt_dscnt 0x0
	v_mul_f64_e32 v[34:35], v[32:33], v[66:67]
	v_mul_f64_e32 v[36:37], v[26:27], v[62:63]
	;; [unrolled: 1-line block ×3, first 2 shown]
	v_fma_f64 v[8:9], v[8:9], v[40:41], -v[78:79]
	v_fma_f64 v[12:13], v[12:13], v[44:45], -v[80:81]
	v_fma_f64 v[10:11], v[40:41], v[10:11], v[42:43]
	v_fma_f64 v[14:15], v[44:45], v[14:15], v[46:47]
	;; [unrolled: 1-line block ×4, first 2 shown]
	v_fma_f64 v[16:17], v[16:17], v[48:49], -v[50:51]
	v_fma_f64 v[22:23], v[22:23], v[52:53], -v[54:55]
	;; [unrolled: 1-line block ×3, first 2 shown]
	v_mad_co_u64_u32 v[81:82], null, s16, v149, 0
	v_add_nc_u32_e32 v97, 0x41, v149
	v_add_f64_e64 v[40:41], v[0:1], -v[4:5]
	v_add_f64_e64 v[42:43], v[2:3], -v[6:7]
	v_fma_f64 v[26:27], v[30:31], v[64:65], -v[34:35]
	v_fma_f64 v[28:29], v[60:61], v[28:29], v[36:37]
	v_fma_f64 v[30:31], v[64:65], v[32:33], v[38:39]
	v_add_f64_e32 v[44:45], v[2:3], v[6:7]
	v_add_f64_e32 v[36:37], v[8:9], v[12:13]
	v_add_f64_e64 v[8:9], v[8:9], -v[12:13]
	v_add_f64_e32 v[32:33], v[10:11], v[14:15]
	v_add_f64_e64 v[10:11], v[10:11], -v[14:15]
	v_add_f64_e32 v[34:35], v[18:19], v[24:25]
	v_add_f64_e32 v[12:13], v[0:1], v[4:5]
	v_add_f64_e32 v[38:39], v[16:17], v[22:23]
	v_add_f64_e64 v[16:17], v[16:17], -v[22:23]
	v_add_f64_e64 v[18:19], v[18:19], -v[24:25]
	s_wait_alu 0xfffe
	v_mul_f64_e32 v[14:15], s[0:1], v[40:41]
	v_mul_f64_e32 v[60:61], s[4:5], v[40:41]
	;; [unrolled: 1-line block ×3, first 2 shown]
	v_add_f64_e32 v[24:25], v[20:21], v[26:27]
	v_mul_f64_e32 v[64:65], s[4:5], v[42:43]
	v_add_f64_e32 v[22:23], v[28:29], v[30:31]
	v_fma_f64 v[62:63], v[44:45], s[8:9], v[58:59]
	v_add_f64_e64 v[20:21], v[20:21], -v[26:27]
	v_add_f64_e64 v[26:27], v[28:29], -v[30:31]
	v_fma_f64 v[50:51], v[36:37], s[8:9], v[56:57]
	v_fma_f64 v[48:49], v[32:33], s[8:9], v[58:59]
	v_add_f64_e32 v[52:53], v[32:33], v[34:35]
	v_fma_f64 v[66:67], v[12:13], s[8:9], v[56:57]
	v_add_f64_e32 v[54:55], v[36:37], v[38:39]
	v_fma_f64 v[68:69], v[34:35], s[8:9], v[58:59]
	v_fma_f64 v[70:71], v[38:39], s[8:9], v[56:57]
	v_add_f64_e32 v[83:84], v[40:41], v[16:17]
	v_add_f64_e32 v[87:88], v[42:43], v[18:19]
	s_mov_b32 s8, 0x42522d1b
	s_mov_b32 s9, 0xbfee11f6
	v_fma_f64 v[14:15], v[8:9], s[4:5], -v[14:15]
	v_fma_f64 v[60:61], v[16:17], s[0:1], v[60:61]
	v_fma_f64 v[46:47], v[10:11], s[4:5], -v[46:47]
	s_mov_b32 s5, 0x3fe491b7
	v_fma_f64 v[64:65], v[18:19], s[0:1], v[64:65]
	s_wait_alu 0xfffe
	v_mul_f64_e32 v[76:77], s[4:5], v[16:17]
	v_mul_f64_e32 v[78:79], s[4:5], v[18:19]
	s_mov_b32 s4, 0x7e0b738b
	s_mov_b32 s5, 0x3fc63a1a
	v_add_f64_e32 v[85:86], v[22:23], v[58:59]
	s_wait_alu 0xfffe
	v_fma_f64 v[62:63], v[34:35], s[4:5], v[62:63]
	v_add_f64_e32 v[89:90], v[24:25], v[56:57]
	v_fma_f64 v[30:31], v[12:13], s[4:5], v[50:51]
	v_fma_f64 v[28:29], v[44:45], s[4:5], v[48:49]
	v_add_f64_e32 v[48:49], v[22:23], v[52:53]
	v_fma_f64 v[66:67], v[38:39], s[4:5], v[66:67]
	v_add_f64_e32 v[50:51], v[24:25], v[54:55]
	v_fma_f64 v[68:69], v[32:33], s[4:5], v[68:69]
	v_fma_f64 v[70:71], v[36:37], s[4:5], v[70:71]
	v_add_f64_e32 v[52:53], v[44:45], v[52:53]
	v_add_f64_e32 v[54:55], v[12:13], v[54:55]
	s_mov_b32 s4, 0x748a0bf8
	s_mov_b32 s5, 0x3fd5e3a8
	v_add_f64_e64 v[87:88], v[87:88], -v[10:11]
	v_fma_f64 v[75:76], v[8:9], s[0:1], v[76:77]
	v_fma_f64 v[77:78], v[10:11], s[0:1], v[78:79]
	s_mov_b32 s0, 0xe8584cab
	v_mad_co_u64_u32 v[79:80], null, s2, v74, 0
	s_mov_b32 s1, 0x3febb67a
	s_wait_alu 0xfffe
	s_mov_b32 s2, s0
	v_fma_f64 v[14:15], v[20:21], s[0:1], v[14:15]
	v_fma_f64 v[46:47], v[26:27], s[0:1], v[46:47]
	s_delay_alu instid0(VALU_DEP_3)
	v_add3_u32 v80, v80, v96, v95
	v_fma_f64 v[30:31], v[24:25], -0.5, v[30:31]
	v_fma_f64 v[28:29], v[22:23], -0.5, v[28:29]
	v_add_f64_e32 v[2:3], v[2:3], v[48:49]
	s_wait_alu 0xfffe
	v_fma_f64 v[48:49], v[20:21], s[2:3], v[60:61]
	v_add_f64_e32 v[0:1], v[0:1], v[50:51]
	v_fma_f64 v[50:51], v[22:23], -0.5, v[62:63]
	v_fma_f64 v[60:61], v[26:27], s[2:3], v[64:65]
	v_fma_f64 v[62:63], v[24:25], -0.5, v[66:67]
	v_fma_f64 v[22:23], v[22:23], -0.5, v[68:69]
	;; [unrolled: 1-line block ×5, first 2 shown]
	v_mad_co_u64_u32 v[66:67], null, s16, v98, 0
	v_mad_co_u64_u32 v[70:71], null, s16, v100, 0
	v_fma_f64 v[20:21], v[20:21], s[0:1], v[75:76]
	v_fma_f64 v[26:27], v[26:27], s[0:1], v[77:78]
	v_mov_b32_e32 v78, v82
	v_add_f64_e64 v[82:83], v[83:84], -v[8:9]
	v_mad_co_u64_u32 v[64:65], null, s16, v97, 0
	v_add_nc_u32_e32 v99, 0xc3, v149
	v_fma_f64 v[84:85], v[16:17], s[4:5], v[14:15]
	v_mad_co_u64_u32 v[76:77], null, s16, v102, 0
	v_fma_f64 v[16:17], v[38:39], s[8:9], v[30:31]
	v_fma_f64 v[14:15], v[34:35], s[8:9], v[28:29]
	v_fma_f64 v[28:29], v[18:19], s[4:5], v[46:47]
	v_add_f64_e32 v[18:19], v[6:7], v[2:3]
	v_mov_b32_e32 v2, v65
	v_fma_f64 v[34:35], v[8:9], s[4:5], v[48:49]
	v_fma_f64 v[8:9], v[32:33], s[8:9], v[50:51]
	;; [unrolled: 1-line block ×4, first 2 shown]
	v_add_f64_e32 v[30:31], v[4:5], v[0:1]
	v_fma_f64 v[22:23], v[44:45], s[8:9], v[22:23]
	v_fma_f64 v[24:25], v[12:13], s[8:9], v[24:25]
	v_mad_co_u64_u32 v[68:69], null, s16, v99, 0
	v_add_nc_u32_e32 v101, 0x145, v149
	v_mov_b32_e32 v3, v67
	v_mov_b32_e32 v5, v71
	v_lshlrev_b64_e32 v[0:1], 4, v[79:80]
	v_mov_b32_e32 v7, v77
	v_mul_f64_e32 v[50:51], s[0:1], v[87:88]
	v_mov_b32_e32 v4, v69
	v_mad_co_u64_u32 v[74:75], null, s16, v101, 0
	v_fma_f64 v[38:39], v[40:41], s[4:5], v[20:21]
	v_fma_f64 v[40:41], v[42:43], s[4:5], v[26:27]
	v_add_nc_u32_e32 v103, 0x1c7, v149
	v_mad_co_u64_u32 v[43:44], null, s17, v98, v[3:4]
	v_mad_co_u64_u32 v[44:45], null, s17, v99, v[4:5]
	v_mov_b32_e32 v6, v75
	v_mad_co_u64_u32 v[20:21], null, s17, v149, v[78:79]
	v_add_co_u32 v21, vcc_lo, s6, v0
	s_delay_alu instid0(VALU_DEP_3)
	v_mad_co_u64_u32 v[45:46], null, s17, v100, v[5:6]
	v_mad_co_u64_u32 v[46:47], null, s17, v101, v[6:7]
	;; [unrolled: 1-line block ×3, first 2 shown]
	v_add_f64_e32 v[4:5], v[28:29], v[16:17]
	s_wait_alu 0xfffd
	v_add_co_ci_u32_e32 v27, vcc_lo, s7, v1, vcc_lo
	v_mad_co_u64_u32 v[47:48], null, s17, v102, v[7:8]
	v_add_f64_e64 v[6:7], v[14:15], -v[84:85]
	v_mul_f64_e32 v[48:49], s[0:1], v[82:83]
	v_fma_f64 v[2:3], v[82:83], s[2:3], v[52:53]
	v_fma_f64 v[0:1], v[87:88], s[0:1], v[54:55]
	v_add_f64_e64 v[14:15], v[8:9], -v[34:35]
	v_add_f64_e32 v[12:13], v[32:33], v[36:37]
	v_add_f64_e32 v[10:11], v[58:59], v[18:19]
	;; [unrolled: 1-line block ×3, first 2 shown]
	v_mad_co_u64_u32 v[91:92], null, s16, v103, 0
	v_dual_mov_b32 v82, v20 :: v_dual_mov_b32 v69, v44
	v_dual_mov_b32 v65, v26 :: v_dual_add_nc_u32 v104, 0x208, v149
	v_add_co_u32 v56, vcc_lo, v21, v72
	v_add_f64_e64 v[18:19], v[22:23], -v[38:39]
	v_add_f64_e32 v[16:17], v[40:41], v[24:25]
	v_lshlrev_b64_e32 v[20:21], 4, v[81:82]
	v_dual_mov_b32 v42, v92 :: v_dual_mov_b32 v67, v43
	s_wait_alu 0xfffd
	v_add_co_ci_u32_e32 v57, vcc_lo, v27, v73, vcc_lo
	v_lshlrev_b64_e32 v[22:23], 4, v[64:65]
	s_delay_alu instid0(VALU_DEP_4)
	v_add_co_u32 v36, vcc_lo, v56, v20
	v_lshlrev_b64_e32 v[24:25], 4, v[66:67]
	s_wait_alu 0xfffd
	v_add_co_ci_u32_e32 v37, vcc_lo, v57, v21, vcc_lo
	v_lshlrev_b64_e32 v[26:27], 4, v[68:69]
	v_add_co_u32 v43, vcc_lo, v56, v22
	s_wait_alu 0xfffd
	v_add_co_ci_u32_e32 v44, vcc_lo, v57, v23, vcc_lo
	v_add_co_u32 v52, vcc_lo, v56, v24
	v_mad_co_u64_u32 v[93:94], null, s16, v104, 0
	s_wait_alu 0xfffd
	v_add_co_ci_u32_e32 v53, vcc_lo, v57, v25, vcc_lo
	v_add_co_u32 v54, vcc_lo, v56, v26
	s_wait_alu 0xfffd
	v_add_co_ci_u32_e32 v55, vcc_lo, v57, v27, vcc_lo
	v_fma_f64 v[26:27], v[84:85], 2.0, v[6:7]
	v_fma_f64 v[24:25], v[28:29], -2.0, v[4:5]
	v_fma_f64 v[22:23], v[48:49], 2.0, v[2:3]
	v_fma_f64 v[20:21], v[50:51], -2.0, v[0:1]
	;; [unrolled: 2-line block ×3, first 2 shown]
	s_clause 0x3
	global_store_b128 v[36:37], v[8:11], off
	global_store_b128 v[43:44], v[16:19], off
	;; [unrolled: 1-line block ×4, first 2 shown]
	v_fma_f64 v[10:11], v[38:39], 2.0, v[18:19]
	v_fma_f64 v[8:9], v[40:41], -2.0, v[16:17]
	v_mad_co_u64_u32 v[2:3], null, s17, v103, v[42:43]
	v_mov_b32_e32 v3, v94
	v_mov_b32_e32 v71, v45
	;; [unrolled: 1-line block ×3, first 2 shown]
	s_delay_alu instid0(VALU_DEP_3) | instskip(SKIP_1) | instid1(VALU_DEP_4)
	v_mad_co_u64_u32 v[14:15], null, s17, v104, v[3:4]
	v_dual_mov_b32 v92, v2 :: v_dual_mov_b32 v75, v46
	v_lshlrev_b64_e32 v[0:1], 4, v[70:71]
	s_delay_alu instid0(VALU_DEP_4) | instskip(NEXT) | instid1(VALU_DEP_4)
	v_lshlrev_b64_e32 v[15:16], 4, v[76:77]
	v_mov_b32_e32 v94, v14
	s_delay_alu instid0(VALU_DEP_4) | instskip(NEXT) | instid1(VALU_DEP_4)
	v_lshlrev_b64_e32 v[12:13], 4, v[74:75]
	v_add_co_u32 v0, vcc_lo, v56, v0
	s_wait_alu 0xfffd
	v_add_co_ci_u32_e32 v1, vcc_lo, v57, v1, vcc_lo
	s_delay_alu instid0(VALU_DEP_3)
	v_add_co_u32 v2, vcc_lo, v56, v12
	s_wait_alu 0xfffd
	v_add_co_ci_u32_e32 v3, vcc_lo, v57, v13, vcc_lo
	v_lshlrev_b64_e32 v[12:13], 4, v[91:92]
	v_add_co_u32 v14, vcc_lo, v56, v15
	s_wait_alu 0xfffd
	v_add_co_ci_u32_e32 v15, vcc_lo, v57, v16, vcc_lo
	v_lshlrev_b64_e32 v[16:17], 4, v[93:94]
	s_delay_alu instid0(VALU_DEP_4) | instskip(SKIP_2) | instid1(VALU_DEP_3)
	v_add_co_u32 v12, vcc_lo, v56, v12
	s_wait_alu 0xfffd
	v_add_co_ci_u32_e32 v13, vcc_lo, v57, v13, vcc_lo
	v_add_co_u32 v16, vcc_lo, v56, v16
	s_wait_alu 0xfffd
	v_add_co_ci_u32_e32 v17, vcc_lo, v57, v17, vcc_lo
	s_clause 0x4
	global_store_b128 v[0:1], v[4:7], off
	global_store_b128 v[2:3], v[24:27], off
	;; [unrolled: 1-line block ×5, first 2 shown]
.LBB0_20:
	s_nop 0
	s_sendmsg sendmsg(MSG_DEALLOC_VGPRS)
	s_endpgm
	.section	.rodata,"a",@progbits
	.p2align	6, 0x0
	.amdhsa_kernel fft_rtc_fwd_len585_factors_13_5_9_wgs_195_tpt_65_dp_op_CI_CI_sbrr_dirReg
		.amdhsa_group_segment_fixed_size 0
		.amdhsa_private_segment_fixed_size 0
		.amdhsa_kernarg_size 104
		.amdhsa_user_sgpr_count 2
		.amdhsa_user_sgpr_dispatch_ptr 0
		.amdhsa_user_sgpr_queue_ptr 0
		.amdhsa_user_sgpr_kernarg_segment_ptr 1
		.amdhsa_user_sgpr_dispatch_id 0
		.amdhsa_user_sgpr_private_segment_size 0
		.amdhsa_wavefront_size32 1
		.amdhsa_uses_dynamic_stack 0
		.amdhsa_enable_private_segment 0
		.amdhsa_system_sgpr_workgroup_id_x 1
		.amdhsa_system_sgpr_workgroup_id_y 0
		.amdhsa_system_sgpr_workgroup_id_z 0
		.amdhsa_system_sgpr_workgroup_info 0
		.amdhsa_system_vgpr_workitem_id 0
		.amdhsa_next_free_vgpr 191
		.amdhsa_next_free_sgpr 48
		.amdhsa_reserve_vcc 1
		.amdhsa_float_round_mode_32 0
		.amdhsa_float_round_mode_16_64 0
		.amdhsa_float_denorm_mode_32 3
		.amdhsa_float_denorm_mode_16_64 3
		.amdhsa_fp16_overflow 0
		.amdhsa_workgroup_processor_mode 1
		.amdhsa_memory_ordered 1
		.amdhsa_forward_progress 0
		.amdhsa_round_robin_scheduling 0
		.amdhsa_exception_fp_ieee_invalid_op 0
		.amdhsa_exception_fp_denorm_src 0
		.amdhsa_exception_fp_ieee_div_zero 0
		.amdhsa_exception_fp_ieee_overflow 0
		.amdhsa_exception_fp_ieee_underflow 0
		.amdhsa_exception_fp_ieee_inexact 0
		.amdhsa_exception_int_div_zero 0
	.end_amdhsa_kernel
	.text
.Lfunc_end0:
	.size	fft_rtc_fwd_len585_factors_13_5_9_wgs_195_tpt_65_dp_op_CI_CI_sbrr_dirReg, .Lfunc_end0-fft_rtc_fwd_len585_factors_13_5_9_wgs_195_tpt_65_dp_op_CI_CI_sbrr_dirReg
                                        ; -- End function
	.section	.AMDGPU.csdata,"",@progbits
; Kernel info:
; codeLenInByte = 8852
; NumSgprs: 50
; NumVgprs: 191
; ScratchSize: 0
; MemoryBound: 1
; FloatMode: 240
; IeeeMode: 1
; LDSByteSize: 0 bytes/workgroup (compile time only)
; SGPRBlocks: 6
; VGPRBlocks: 23
; NumSGPRsForWavesPerEU: 50
; NumVGPRsForWavesPerEU: 191
; Occupancy: 8
; WaveLimiterHint : 1
; COMPUTE_PGM_RSRC2:SCRATCH_EN: 0
; COMPUTE_PGM_RSRC2:USER_SGPR: 2
; COMPUTE_PGM_RSRC2:TRAP_HANDLER: 0
; COMPUTE_PGM_RSRC2:TGID_X_EN: 1
; COMPUTE_PGM_RSRC2:TGID_Y_EN: 0
; COMPUTE_PGM_RSRC2:TGID_Z_EN: 0
; COMPUTE_PGM_RSRC2:TIDIG_COMP_CNT: 0
	.text
	.p2alignl 7, 3214868480
	.fill 96, 4, 3214868480
	.type	__hip_cuid_d68a849b42f1f19a,@object ; @__hip_cuid_d68a849b42f1f19a
	.section	.bss,"aw",@nobits
	.globl	__hip_cuid_d68a849b42f1f19a
__hip_cuid_d68a849b42f1f19a:
	.byte	0                               ; 0x0
	.size	__hip_cuid_d68a849b42f1f19a, 1

	.ident	"AMD clang version 19.0.0git (https://github.com/RadeonOpenCompute/llvm-project roc-6.4.0 25133 c7fe45cf4b819c5991fe208aaa96edf142730f1d)"
	.section	".note.GNU-stack","",@progbits
	.addrsig
	.addrsig_sym __hip_cuid_d68a849b42f1f19a
	.amdgpu_metadata
---
amdhsa.kernels:
  - .args:
      - .actual_access:  read_only
        .address_space:  global
        .offset:         0
        .size:           8
        .value_kind:     global_buffer
      - .offset:         8
        .size:           8
        .value_kind:     by_value
      - .actual_access:  read_only
        .address_space:  global
        .offset:         16
        .size:           8
        .value_kind:     global_buffer
      - .actual_access:  read_only
        .address_space:  global
        .offset:         24
        .size:           8
        .value_kind:     global_buffer
      - .actual_access:  read_only
        .address_space:  global
        .offset:         32
        .size:           8
        .value_kind:     global_buffer
      - .offset:         40
        .size:           8
        .value_kind:     by_value
      - .actual_access:  read_only
        .address_space:  global
        .offset:         48
        .size:           8
        .value_kind:     global_buffer
      - .actual_access:  read_only
        .address_space:  global
        .offset:         56
        .size:           8
        .value_kind:     global_buffer
      - .offset:         64
        .size:           4
        .value_kind:     by_value
      - .actual_access:  read_only
        .address_space:  global
        .offset:         72
        .size:           8
        .value_kind:     global_buffer
      - .actual_access:  read_only
        .address_space:  global
        .offset:         80
        .size:           8
        .value_kind:     global_buffer
      - .actual_access:  read_only
        .address_space:  global
        .offset:         88
        .size:           8
        .value_kind:     global_buffer
      - .actual_access:  write_only
        .address_space:  global
        .offset:         96
        .size:           8
        .value_kind:     global_buffer
    .group_segment_fixed_size: 0
    .kernarg_segment_align: 8
    .kernarg_segment_size: 104
    .language:       OpenCL C
    .language_version:
      - 2
      - 0
    .max_flat_workgroup_size: 195
    .name:           fft_rtc_fwd_len585_factors_13_5_9_wgs_195_tpt_65_dp_op_CI_CI_sbrr_dirReg
    .private_segment_fixed_size: 0
    .sgpr_count:     50
    .sgpr_spill_count: 0
    .symbol:         fft_rtc_fwd_len585_factors_13_5_9_wgs_195_tpt_65_dp_op_CI_CI_sbrr_dirReg.kd
    .uniform_work_group_size: 1
    .uses_dynamic_stack: false
    .vgpr_count:     191
    .vgpr_spill_count: 0
    .wavefront_size: 32
    .workgroup_processor_mode: 1
amdhsa.target:   amdgcn-amd-amdhsa--gfx1201
amdhsa.version:
  - 1
  - 2
...

	.end_amdgpu_metadata
